;; amdgpu-corpus repo=ROCm/rocFFT kind=compiled arch=gfx906 opt=O3
	.text
	.amdgcn_target "amdgcn-amd-amdhsa--gfx906"
	.amdhsa_code_object_version 6
	.protected	fft_rtc_back_len1280_factors_16_5_16_wgs_80_tpt_80_halfLds_sp_op_CI_CI_sbrr_dirReg ; -- Begin function fft_rtc_back_len1280_factors_16_5_16_wgs_80_tpt_80_halfLds_sp_op_CI_CI_sbrr_dirReg
	.globl	fft_rtc_back_len1280_factors_16_5_16_wgs_80_tpt_80_halfLds_sp_op_CI_CI_sbrr_dirReg
	.p2align	8
	.type	fft_rtc_back_len1280_factors_16_5_16_wgs_80_tpt_80_halfLds_sp_op_CI_CI_sbrr_dirReg,@function
fft_rtc_back_len1280_factors_16_5_16_wgs_80_tpt_80_halfLds_sp_op_CI_CI_sbrr_dirReg: ; @fft_rtc_back_len1280_factors_16_5_16_wgs_80_tpt_80_halfLds_sp_op_CI_CI_sbrr_dirReg
; %bb.0:
	s_load_dwordx4 s[16:19], s[4:5], 0x18
	s_load_dwordx4 s[12:15], s[4:5], 0x0
	;; [unrolled: 1-line block ×3, first 2 shown]
	v_mul_u32_u24_e32 v1, 0x334, v0
	v_mov_b32_e32 v7, 0
	s_waitcnt lgkmcnt(0)
	s_load_dwordx2 s[20:21], s[16:17], 0x0
	s_load_dwordx2 s[2:3], s[18:19], 0x0
	v_cmp_lt_u64_e64 s[0:1], s[14:15], 2
	v_mov_b32_e32 v5, 0
	v_add_u32_sdwa v9, s6, v1 dst_sel:DWORD dst_unused:UNUSED_PAD src0_sel:DWORD src1_sel:WORD_1
	v_mov_b32_e32 v10, v7
	s_and_b64 vcc, exec, s[0:1]
	v_mov_b32_e32 v6, 0
	s_cbranch_vccnz .LBB0_8
; %bb.1:
	s_load_dwordx2 s[0:1], s[4:5], 0x10
	s_add_u32 s6, s18, 8
	s_addc_u32 s7, s19, 0
	s_add_u32 s22, s16, 8
	s_addc_u32 s23, s17, 0
	v_mov_b32_e32 v5, 0
	s_waitcnt lgkmcnt(0)
	s_add_u32 s24, s0, 8
	v_mov_b32_e32 v6, 0
	v_mov_b32_e32 v1, v5
	s_addc_u32 s25, s1, 0
	s_mov_b64 s[26:27], 1
	v_mov_b32_e32 v2, v6
.LBB0_2:                                ; =>This Inner Loop Header: Depth=1
	s_load_dwordx2 s[28:29], s[24:25], 0x0
                                        ; implicit-def: $vgpr3_vgpr4
	s_waitcnt lgkmcnt(0)
	v_or_b32_e32 v8, s29, v10
	v_cmp_ne_u64_e32 vcc, 0, v[7:8]
	s_and_saveexec_b64 s[0:1], vcc
	s_xor_b64 s[30:31], exec, s[0:1]
	s_cbranch_execz .LBB0_4
; %bb.3:                                ;   in Loop: Header=BB0_2 Depth=1
	v_cvt_f32_u32_e32 v3, s28
	v_cvt_f32_u32_e32 v4, s29
	s_sub_u32 s0, 0, s28
	s_subb_u32 s1, 0, s29
	v_mac_f32_e32 v3, 0x4f800000, v4
	v_rcp_f32_e32 v3, v3
	v_mul_f32_e32 v3, 0x5f7ffffc, v3
	v_mul_f32_e32 v4, 0x2f800000, v3
	v_trunc_f32_e32 v4, v4
	v_mac_f32_e32 v3, 0xcf800000, v4
	v_cvt_u32_f32_e32 v4, v4
	v_cvt_u32_f32_e32 v3, v3
	v_mul_lo_u32 v8, s0, v4
	v_mul_hi_u32 v11, s0, v3
	v_mul_lo_u32 v13, s1, v3
	v_mul_lo_u32 v12, s0, v3
	v_add_u32_e32 v8, v11, v8
	v_add_u32_e32 v8, v8, v13
	v_mul_hi_u32 v11, v3, v12
	v_mul_lo_u32 v13, v3, v8
	v_mul_hi_u32 v15, v3, v8
	v_mul_hi_u32 v14, v4, v12
	v_mul_lo_u32 v12, v4, v12
	v_mul_hi_u32 v16, v4, v8
	v_add_co_u32_e32 v11, vcc, v11, v13
	v_addc_co_u32_e32 v13, vcc, 0, v15, vcc
	v_mul_lo_u32 v8, v4, v8
	v_add_co_u32_e32 v11, vcc, v11, v12
	v_addc_co_u32_e32 v11, vcc, v13, v14, vcc
	v_addc_co_u32_e32 v12, vcc, 0, v16, vcc
	v_add_co_u32_e32 v8, vcc, v11, v8
	v_addc_co_u32_e32 v11, vcc, 0, v12, vcc
	v_add_co_u32_e32 v3, vcc, v3, v8
	v_addc_co_u32_e32 v4, vcc, v4, v11, vcc
	v_mul_lo_u32 v8, s0, v4
	v_mul_hi_u32 v11, s0, v3
	v_mul_lo_u32 v12, s1, v3
	v_mul_lo_u32 v13, s0, v3
	v_add_u32_e32 v8, v11, v8
	v_add_u32_e32 v8, v8, v12
	v_mul_lo_u32 v14, v3, v8
	v_mul_hi_u32 v15, v3, v13
	v_mul_hi_u32 v16, v3, v8
	;; [unrolled: 1-line block ×3, first 2 shown]
	v_mul_lo_u32 v13, v4, v13
	v_mul_hi_u32 v11, v4, v8
	v_add_co_u32_e32 v14, vcc, v15, v14
	v_addc_co_u32_e32 v15, vcc, 0, v16, vcc
	v_mul_lo_u32 v8, v4, v8
	v_add_co_u32_e32 v13, vcc, v14, v13
	v_addc_co_u32_e32 v12, vcc, v15, v12, vcc
	v_addc_co_u32_e32 v11, vcc, 0, v11, vcc
	v_add_co_u32_e32 v8, vcc, v12, v8
	v_addc_co_u32_e32 v11, vcc, 0, v11, vcc
	v_add_co_u32_e32 v8, vcc, v3, v8
	v_addc_co_u32_e32 v11, vcc, v4, v11, vcc
	v_mad_u64_u32 v[3:4], s[0:1], v9, v11, 0
	v_mul_hi_u32 v12, v9, v8
	v_add_co_u32_e32 v13, vcc, v12, v3
	v_addc_co_u32_e32 v14, vcc, 0, v4, vcc
	v_mad_u64_u32 v[3:4], s[0:1], v10, v8, 0
	v_mad_u64_u32 v[11:12], s[0:1], v10, v11, 0
	v_add_co_u32_e32 v3, vcc, v13, v3
	v_addc_co_u32_e32 v3, vcc, v14, v4, vcc
	v_addc_co_u32_e32 v4, vcc, 0, v12, vcc
	v_add_co_u32_e32 v8, vcc, v3, v11
	v_addc_co_u32_e32 v11, vcc, 0, v4, vcc
	v_mul_lo_u32 v12, s29, v8
	v_mul_lo_u32 v13, s28, v11
	v_mad_u64_u32 v[3:4], s[0:1], s28, v8, 0
	v_add3_u32 v4, v4, v13, v12
	v_sub_u32_e32 v12, v10, v4
	v_mov_b32_e32 v13, s29
	v_sub_co_u32_e32 v3, vcc, v9, v3
	v_subb_co_u32_e64 v12, s[0:1], v12, v13, vcc
	v_subrev_co_u32_e64 v13, s[0:1], s28, v3
	v_subbrev_co_u32_e64 v12, s[0:1], 0, v12, s[0:1]
	v_cmp_le_u32_e64 s[0:1], s29, v12
	v_cndmask_b32_e64 v14, 0, -1, s[0:1]
	v_cmp_le_u32_e64 s[0:1], s28, v13
	v_cndmask_b32_e64 v13, 0, -1, s[0:1]
	v_cmp_eq_u32_e64 s[0:1], s29, v12
	v_cndmask_b32_e64 v12, v14, v13, s[0:1]
	v_add_co_u32_e64 v13, s[0:1], 2, v8
	v_addc_co_u32_e64 v14, s[0:1], 0, v11, s[0:1]
	v_add_co_u32_e64 v15, s[0:1], 1, v8
	v_addc_co_u32_e64 v16, s[0:1], 0, v11, s[0:1]
	v_subb_co_u32_e32 v4, vcc, v10, v4, vcc
	v_cmp_ne_u32_e64 s[0:1], 0, v12
	v_cmp_le_u32_e32 vcc, s29, v4
	v_cndmask_b32_e64 v12, v16, v14, s[0:1]
	v_cndmask_b32_e64 v14, 0, -1, vcc
	v_cmp_le_u32_e32 vcc, s28, v3
	v_cndmask_b32_e64 v3, 0, -1, vcc
	v_cmp_eq_u32_e32 vcc, s29, v4
	v_cndmask_b32_e32 v3, v14, v3, vcc
	v_cmp_ne_u32_e32 vcc, 0, v3
	v_cndmask_b32_e64 v3, v15, v13, s[0:1]
	v_cndmask_b32_e32 v4, v11, v12, vcc
	v_cndmask_b32_e32 v3, v8, v3, vcc
.LBB0_4:                                ;   in Loop: Header=BB0_2 Depth=1
	s_andn2_saveexec_b64 s[0:1], s[30:31]
	s_cbranch_execz .LBB0_6
; %bb.5:                                ;   in Loop: Header=BB0_2 Depth=1
	v_cvt_f32_u32_e32 v3, s28
	s_sub_i32 s30, 0, s28
	v_rcp_iflag_f32_e32 v3, v3
	v_mul_f32_e32 v3, 0x4f7ffffe, v3
	v_cvt_u32_f32_e32 v3, v3
	v_mul_lo_u32 v4, s30, v3
	v_mul_hi_u32 v4, v3, v4
	v_add_u32_e32 v3, v3, v4
	v_mul_hi_u32 v3, v9, v3
	v_mul_lo_u32 v4, v3, s28
	v_add_u32_e32 v8, 1, v3
	v_sub_u32_e32 v4, v9, v4
	v_subrev_u32_e32 v11, s28, v4
	v_cmp_le_u32_e32 vcc, s28, v4
	v_cndmask_b32_e32 v4, v4, v11, vcc
	v_cndmask_b32_e32 v3, v3, v8, vcc
	v_add_u32_e32 v8, 1, v3
	v_cmp_le_u32_e32 vcc, s28, v4
	v_cndmask_b32_e32 v3, v3, v8, vcc
	v_mov_b32_e32 v4, v7
.LBB0_6:                                ;   in Loop: Header=BB0_2 Depth=1
	s_or_b64 exec, exec, s[0:1]
	v_mul_lo_u32 v8, v4, s28
	v_mul_lo_u32 v13, v3, s29
	v_mad_u64_u32 v[11:12], s[0:1], v3, s28, 0
	s_load_dwordx2 s[0:1], s[22:23], 0x0
	s_load_dwordx2 s[28:29], s[6:7], 0x0
	v_add3_u32 v8, v12, v13, v8
	v_sub_co_u32_e32 v9, vcc, v9, v11
	v_subb_co_u32_e32 v8, vcc, v10, v8, vcc
	s_waitcnt lgkmcnt(0)
	v_mul_lo_u32 v10, s0, v8
	v_mul_lo_u32 v11, s1, v9
	v_mad_u64_u32 v[5:6], s[0:1], s0, v9, v[5:6]
	v_mul_lo_u32 v8, s28, v8
	v_mul_lo_u32 v12, s29, v9
	v_mad_u64_u32 v[1:2], s[0:1], s28, v9, v[1:2]
	s_add_u32 s26, s26, 1
	s_addc_u32 s27, s27, 0
	s_add_u32 s6, s6, 8
	v_add3_u32 v2, v12, v2, v8
	s_addc_u32 s7, s7, 0
	v_mov_b32_e32 v8, s14
	s_add_u32 s22, s22, 8
	v_mov_b32_e32 v9, s15
	s_addc_u32 s23, s23, 0
	v_cmp_ge_u64_e32 vcc, s[26:27], v[8:9]
	s_add_u32 s24, s24, 8
	v_add3_u32 v6, v11, v6, v10
	s_addc_u32 s25, s25, 0
	s_cbranch_vccnz .LBB0_9
; %bb.7:                                ;   in Loop: Header=BB0_2 Depth=1
	v_mov_b32_e32 v10, v4
	v_mov_b32_e32 v9, v3
	s_branch .LBB0_2
.LBB0_8:
	v_mov_b32_e32 v1, v5
	v_mov_b32_e32 v3, v9
	;; [unrolled: 1-line block ×4, first 2 shown]
.LBB0_9:
	s_load_dwordx2 s[0:1], s[4:5], 0x28
	s_lshl_b64 s[14:15], s[14:15], 3
	s_add_u32 s4, s18, s14
	s_addc_u32 s5, s19, s15
                                        ; implicit-def: $sgpr18_sgpr19
                                        ; implicit-def: $sgpr22
                                        ; implicit-def: $vgpr42
                                        ; implicit-def: $vgpr44
                                        ; implicit-def: $vgpr43
                                        ; implicit-def: $vgpr39
	s_waitcnt lgkmcnt(0)
	v_cmp_gt_u64_e32 vcc, s[0:1], v[3:4]
	v_cmp_le_u64_e64 s[0:1], s[0:1], v[3:4]
	s_and_saveexec_b64 s[6:7], s[0:1]
	s_xor_b64 s[0:1], exec, s[6:7]
; %bb.10:
	s_mov_b32 s6, 0x3333334
	v_mul_hi_u32 v5, v0, s6
	s_mov_b32 s22, 0
	s_mov_b64 s[18:19], 0
	v_mul_u32_u24_e32 v5, 0x50, v5
	v_sub_u32_e32 v42, v0, v5
	v_add_u32_e32 v44, 0x50, v42
	v_add_u32_e32 v43, 0xa0, v42
	;; [unrolled: 1-line block ×3, first 2 shown]
                                        ; implicit-def: $vgpr0
                                        ; implicit-def: $vgpr5_vgpr6
; %bb.11:
	s_or_saveexec_b64 s[6:7], s[0:1]
	v_mov_b32_e32 v7, s18
	v_mov_b32_e32 v17, s18
	v_mov_b32_e32 v30, s19
	v_mov_b32_e32 v32, s19
	v_mov_b32_e32 v20, s19
	v_mov_b32_e32 v28, s19
	v_mov_b32_e32 v22, s19
	v_mov_b32_e32 v24, s19
	v_mov_b32_e32 v41, s22
	v_mov_b32_e32 v8, s19
	v_mov_b32_e32 v18, s19
	v_mov_b32_e32 v29, s18
	v_mov_b32_e32 v31, s18
	v_mov_b32_e32 v19, s18
	v_mov_b32_e32 v27, s18
	v_mov_b32_e32 v21, s18
	v_mov_b32_e32 v23, s18
                                        ; implicit-def: $vgpr16
                                        ; implicit-def: $vgpr12
                                        ; implicit-def: $vgpr26
                                        ; implicit-def: $vgpr10
                                        ; implicit-def: $vgpr36
                                        ; implicit-def: $vgpr14
                                        ; implicit-def: $vgpr34
                                        ; implicit-def: $vgpr38
	s_xor_b64 exec, exec, s[6:7]
	s_cbranch_execz .LBB0_13
; %bb.12:
	s_add_u32 s0, s16, s14
	s_mov_b32 s14, 0x3333334
	v_mul_hi_u32 v7, v0, s14
	s_addc_u32 s1, s17, s15
	s_load_dwordx2 s[0:1], s[0:1], 0x0
	v_lshlrev_b64 v[5:6], 3, v[5:6]
	v_mul_u32_u24_e32 v7, 0x50, v7
	v_sub_u32_e32 v42, v0, v7
	v_mad_u64_u32 v[7:8], s[14:15], s20, v42, 0
	s_waitcnt lgkmcnt(0)
	v_mul_lo_u32 v13, s1, v3
	v_mul_lo_u32 v14, s0, v4
	v_mad_u64_u32 v[9:10], s[0:1], s0, v3, 0
	v_mov_b32_e32 v0, v8
	v_mad_u64_u32 v[11:12], s[0:1], s21, v42, v[0:1]
	v_add3_u32 v10, v10, v14, v13
	v_lshlrev_b64 v[9:10], 3, v[9:10]
	v_mov_b32_e32 v8, v11
	v_mov_b32_e32 v0, s9
	v_add_co_u32_e64 v11, s[0:1], s8, v9
	v_add_u32_e32 v44, 0x50, v42
	v_addc_co_u32_e64 v0, s[0:1], v0, v10, s[0:1]
	v_mad_u64_u32 v[9:10], s[0:1], s20, v44, 0
	v_add_co_u32_e64 v15, s[0:1], v11, v5
	v_addc_co_u32_e64 v16, s[0:1], v0, v6, s[0:1]
	v_mov_b32_e32 v0, v10
	v_add_u32_e32 v43, 0xa0, v42
	v_lshlrev_b64 v[5:6], 3, v[7:8]
	v_mad_u64_u32 v[7:8], s[0:1], s21, v44, v[0:1]
	v_mad_u64_u32 v[11:12], s[0:1], s20, v43, 0
	v_add_co_u32_e64 v5, s[0:1], v15, v5
	v_mov_b32_e32 v10, v7
	v_mov_b32_e32 v0, v12
	v_add_u32_e32 v39, 0xf0, v42
	v_addc_co_u32_e64 v6, s[0:1], v16, v6, s[0:1]
	v_lshlrev_b64 v[7:8], 3, v[9:10]
	v_mad_u64_u32 v[9:10], s[0:1], s21, v43, v[0:1]
	v_mad_u64_u32 v[13:14], s[0:1], s20, v39, 0
	v_add_co_u32_e64 v37, s[0:1], v15, v7
	v_mov_b32_e32 v12, v9
	v_mov_b32_e32 v0, v14
	v_addc_co_u32_e64 v38, s[0:1], v16, v8, s[0:1]
	v_lshlrev_b64 v[7:8], 3, v[11:12]
	v_mad_u64_u32 v[9:10], s[0:1], s21, v39, v[0:1]
	v_add_u32_e32 v12, 0x140, v42
	v_mad_u64_u32 v[10:11], s[0:1], s20, v12, 0
	v_add_co_u32_e64 v40, s[0:1], v15, v7
	v_mov_b32_e32 v0, v11
	v_addc_co_u32_e64 v41, s[0:1], v16, v8, s[0:1]
	v_mov_b32_e32 v14, v9
	v_mad_u64_u32 v[11:12], s[0:1], s21, v12, v[0:1]
	v_add_u32_e32 v9, 0x190, v42
	v_lshlrev_b64 v[7:8], 3, v[13:14]
	v_mad_u64_u32 v[12:13], s[0:1], s20, v9, 0
	v_add_co_u32_e64 v45, s[0:1], v15, v7
	v_mov_b32_e32 v0, v13
	v_addc_co_u32_e64 v46, s[0:1], v16, v8, s[0:1]
	v_lshlrev_b64 v[7:8], 3, v[10:11]
	v_mad_u64_u32 v[9:10], s[0:1], s21, v9, v[0:1]
	v_add_u32_e32 v14, 0x1e0, v42
	v_mad_u64_u32 v[10:11], s[0:1], s20, v14, 0
	v_add_co_u32_e64 v47, s[0:1], v15, v7
	v_mov_b32_e32 v13, v9
	v_mov_b32_e32 v0, v11
	v_addc_co_u32_e64 v48, s[0:1], v16, v8, s[0:1]
	v_lshlrev_b64 v[7:8], 3, v[12:13]
	v_mad_u64_u32 v[11:12], s[0:1], s21, v14, v[0:1]
	v_add_u32_e32 v9, 0x230, v42
	v_mad_u64_u32 v[12:13], s[0:1], s20, v9, 0
	v_add_co_u32_e64 v49, s[0:1], v15, v7
	v_mov_b32_e32 v0, v13
	v_addc_co_u32_e64 v50, s[0:1], v16, v8, s[0:1]
	v_lshlrev_b64 v[7:8], 3, v[10:11]
	v_mad_u64_u32 v[9:10], s[0:1], s21, v9, v[0:1]
	v_or_b32_e32 v14, 0x280, v42
	v_mad_u64_u32 v[10:11], s[0:1], s20, v14, 0
	v_add_co_u32_e64 v51, s[0:1], v15, v7
	v_mov_b32_e32 v13, v9
	v_mov_b32_e32 v0, v11
	v_addc_co_u32_e64 v52, s[0:1], v16, v8, s[0:1]
	v_lshlrev_b64 v[7:8], 3, v[12:13]
	v_mad_u64_u32 v[11:12], s[0:1], s21, v14, v[0:1]
	v_add_u32_e32 v9, 0x2d0, v42
	v_mad_u64_u32 v[12:13], s[0:1], s20, v9, 0
	v_add_co_u32_e64 v53, s[0:1], v15, v7
	v_mov_b32_e32 v0, v13
	v_addc_co_u32_e64 v54, s[0:1], v16, v8, s[0:1]
	v_lshlrev_b64 v[7:8], 3, v[10:11]
	v_mad_u64_u32 v[9:10], s[0:1], s21, v9, v[0:1]
	v_add_u32_e32 v14, 0x320, v42
	v_mad_u64_u32 v[10:11], s[0:1], s20, v14, 0
	v_add_co_u32_e64 v55, s[0:1], v15, v7
	v_mov_b32_e32 v13, v9
	v_mov_b32_e32 v0, v11
	v_addc_co_u32_e64 v56, s[0:1], v16, v8, s[0:1]
	v_lshlrev_b64 v[7:8], 3, v[12:13]
	v_mad_u64_u32 v[11:12], s[0:1], s21, v14, v[0:1]
	v_add_u32_e32 v9, 0x370, v42
	v_mad_u64_u32 v[12:13], s[0:1], s20, v9, 0
	v_add_co_u32_e64 v57, s[0:1], v15, v7
	v_mov_b32_e32 v0, v13
	v_addc_co_u32_e64 v58, s[0:1], v16, v8, s[0:1]
	v_lshlrev_b64 v[7:8], 3, v[10:11]
	v_mad_u64_u32 v[9:10], s[0:1], s21, v9, v[0:1]
	v_add_u32_e32 v14, 0x3c0, v42
	;; [unrolled: 15-line block ×3, first 2 shown]
	v_mad_u64_u32 v[10:11], s[0:1], s20, v14, 0
	v_add_co_u32_e64 v63, s[0:1], v15, v7
	v_mov_b32_e32 v13, v9
	v_mov_b32_e32 v0, v11
	v_addc_co_u32_e64 v64, s[0:1], v16, v8, s[0:1]
	v_lshlrev_b64 v[7:8], 3, v[12:13]
	v_mad_u64_u32 v[11:12], s[0:1], s21, v14, v[0:1]
	v_add_u32_e32 v9, 0x4b0, v42
	v_mad_u64_u32 v[12:13], s[0:1], s20, v9, 0
	v_add_co_u32_e64 v65, s[0:1], v15, v7
	v_mov_b32_e32 v0, v13
	v_addc_co_u32_e64 v66, s[0:1], v16, v8, s[0:1]
	v_lshlrev_b64 v[7:8], 3, v[10:11]
	v_mad_u64_u32 v[9:10], s[0:1], s21, v9, v[0:1]
	v_add_co_u32_e64 v67, s[0:1], v15, v7
	v_mov_b32_e32 v13, v9
	v_addc_co_u32_e64 v68, s[0:1], v16, v8, s[0:1]
	v_lshlrev_b64 v[7:8], 3, v[12:13]
	v_add_co_u32_e64 v69, s[0:1], v15, v7
	v_addc_co_u32_e64 v70, s[0:1], v16, v8, s[0:1]
	global_load_dwordx2 v[7:8], v[5:6], off
	global_load_dwordx2 v[19:20], v[37:38], off
	global_load_dwordx2 v[29:30], v[40:41], off
	global_load_dwordx2 v[21:22], v[45:46], off
	global_load_dwordx2 v[17:18], v[47:48], off
	global_load_dwordx2 v[27:28], v[49:50], off
	global_load_dwordx2 v[31:32], v[51:52], off
	global_load_dwordx2 v[23:24], v[53:54], off
	global_load_dwordx2 v[15:16], v[55:56], off
	global_load_dwordx2 v[11:12], v[57:58], off
	global_load_dwordx2 v[25:26], v[59:60], off
	global_load_dwordx2 v[9:10], v[61:62], off
	global_load_dwordx2 v[35:36], v[63:64], off
	global_load_dwordx2 v[13:14], v[65:66], off
	global_load_dwordx2 v[33:34], v[67:68], off
                                        ; kill: killed $vgpr47 killed $vgpr48
                                        ; kill: killed $vgpr5 killed $vgpr6
                                        ; kill: killed $vgpr63 killed $vgpr64
                                        ; kill: killed $vgpr40 killed $vgpr41
                                        ; kill: killed $vgpr49 killed $vgpr50
                                        ; kill: killed $vgpr67 killed $vgpr68
                                        ; kill: killed $vgpr57 killed $vgpr58
                                        ; kill: killed $vgpr37 killed $vgpr38
                                        ; kill: killed $vgpr51 killed $vgpr52
                                        ; kill: killed $vgpr61 killed $vgpr62
                                        ; kill: killed $vgpr53 killed $vgpr54
                                        ; kill: killed $vgpr65 killed $vgpr66
                                        ; kill: killed $vgpr55 killed $vgpr56
                                        ; kill: killed $vgpr45 killed $vgpr46
                                        ; kill: killed $vgpr59 killed $vgpr60
	global_load_dwordx2 v[37:38], v[69:70], off
	v_mov_b32_e32 v41, v42
.LBB0_13:
	s_or_b64 exec, exec, s[6:7]
	s_waitcnt vmcnt(7)
	v_sub_f32_e32 v0, v7, v15
	s_waitcnt vmcnt(3)
	v_sub_f32_e32 v5, v17, v35
	v_sub_f32_e32 v35, v18, v36
	;; [unrolled: 1-line block ×4, first 2 shown]
	v_fma_f32 v6, v7, 2.0, -v0
	v_fma_f32 v7, v17, 2.0, -v5
	;; [unrolled: 1-line block ×3, first 2 shown]
	s_waitcnt vmcnt(1)
	v_sub_f32_e32 v30, v31, v33
	v_sub_f32_e32 v33, v32, v34
	;; [unrolled: 1-line block ×6, first 2 shown]
	s_waitcnt vmcnt(0)
	v_sub_f32_e32 v36, v24, v38
	v_add_f32_e32 v38, v0, v35
	v_fma_f32 v26, v29, 2.0, -v15
	v_fma_f32 v29, v31, 2.0, -v30
	v_fma_f32 v31, v32, 2.0, -v33
	v_fma_f32 v19, v19, 2.0, -v11
	v_fma_f32 v20, v20, 2.0, -v12
	v_fma_f32 v27, v27, 2.0, -v13
	v_fma_f32 v28, v28, 2.0, -v14
	v_sub_f32_e32 v32, v21, v9
	v_fma_f32 v0, v0, 2.0, -v38
	v_add_f32_e32 v45, v15, v33
	v_add_f32_e32 v14, v11, v14
	v_sub_f32_e32 v10, v22, v10
	v_sub_f32_e32 v34, v23, v37
	;; [unrolled: 1-line block ×3, first 2 shown]
	v_fma_f32 v47, v15, 2.0, -v45
	v_sub_f32_e32 v15, v19, v27
	v_sub_f32_e32 v27, v20, v28
	;; [unrolled: 1-line block ×3, first 2 shown]
	v_fma_f32 v11, v11, 2.0, -v14
	v_add_f32_e32 v28, v32, v36
	v_mov_b32_e32 v49, v0
	v_fma_f32 v25, v25, 2.0, -v46
	v_fma_f32 v12, v12, 2.0, -v13
	v_sub_f32_e32 v40, v10, v34
	v_fma_f32 v33, v32, 2.0, -v28
	v_fmac_f32_e32 v49, 0xbf3504f3, v47
	v_mov_b32_e32 v30, v11
	v_fma_f32 v21, v21, 2.0, -v32
	v_fma_f32 v22, v22, 2.0, -v10
	v_fma_f32 v23, v23, 2.0, -v34
	v_fma_f32 v10, v10, 2.0, -v40
	v_fmac_f32_e32 v49, 0x3f3504f3, v25
	v_fmac_f32_e32 v30, 0xbf3504f3, v33
	v_mov_b32_e32 v32, v12
	v_sub_f32_e32 v7, v6, v7
	v_sub_f32_e32 v9, v26, v29
	;; [unrolled: 1-line block ×3, first 2 shown]
	v_fma_f32 v0, v0, 2.0, -v49
	v_fmac_f32_e32 v32, 0xbf3504f3, v10
	v_fmac_f32_e32 v30, 0x3f3504f3, v10
	v_fma_f32 v24, v24, 2.0, -v36
	v_fma_f32 v6, v6, 2.0, -v7
	v_sub_f32_e32 v29, v17, v31
	v_fma_f32 v26, v26, 2.0, -v9
	v_fma_f32 v19, v19, 2.0, -v15
	;; [unrolled: 1-line block ×3, first 2 shown]
	v_fmac_f32_e32 v32, 0xbf3504f3, v33
	v_fma_f32 v36, v11, 2.0, -v30
	v_mov_b32_e32 v11, v0
	v_sub_f32_e32 v26, v6, v26
	v_add_f32_e32 v50, v7, v29
	v_sub_f32_e32 v31, v19, v21
	v_fma_f32 v37, v12, 2.0, -v32
	v_fmac_f32_e32 v11, 0xbf6c835e, v36
	v_fma_f32 v6, v6, 2.0, -v26
	v_fma_f32 v51, v7, 2.0, -v50
	;; [unrolled: 1-line block ×3, first 2 shown]
	v_fmac_f32_e32 v11, 0x3ec3ef15, v37
	v_sub_f32_e32 v10, v6, v7
	v_fma_f32 v7, v0, 2.0, -v11
	v_mov_b32_e32 v0, v38
	v_mov_b32_e32 v33, v14
	;; [unrolled: 1-line block ×3, first 2 shown]
	v_fmac_f32_e32 v0, 0x3f3504f3, v45
	v_sub_f32_e32 v24, v22, v24
	v_fmac_f32_e32 v33, 0x3f3504f3, v28
	v_fmac_f32_e32 v34, 0x3f3504f3, v40
	;; [unrolled: 1-line block ×5, first 2 shown]
	v_fma_f32 v19, v38, 2.0, -v0
	v_add_f32_e32 v28, v15, v24
	v_sub_f32_e32 v23, v27, v23
	v_fma_f32 v53, v15, 2.0, -v28
	v_fma_f32 v40, v14, 2.0, -v33
	;; [unrolled: 1-line block ×3, first 2 shown]
	v_mov_b32_e32 v12, v51
	v_mov_b32_e32 v13, v19
	v_fmac_f32_e32 v12, 0xbf3504f3, v53
	v_fma_f32 v54, v27, 2.0, -v23
	v_fmac_f32_e32 v13, 0xbec3ef15, v40
	v_fmac_f32_e32 v12, 0x3f3504f3, v54
	;; [unrolled: 1-line block ×3, first 2 shown]
	v_fma_f32 v6, v6, 2.0, -v10
	v_fma_f32 v14, v51, 2.0, -v12
	;; [unrolled: 1-line block ×3, first 2 shown]
	v_lshl_add_u32 v38, v42, 6, 0
	ds_write2_b64 v38, v[6:7], v[14:15] offset1:1
	v_fma_f32 v51, v20, 2.0, -v27
	v_fma_f32 v6, v22, 2.0, -v24
	v_sub_f32_e32 v52, v51, v6
	v_mov_b32_e32 v15, v49
	v_mov_b32_e32 v6, v50
	;; [unrolled: 1-line block ×3, first 2 shown]
	v_fmac_f32_e32 v15, 0x3ec3ef15, v30
	v_fmac_f32_e32 v6, 0x3f3504f3, v28
	;; [unrolled: 1-line block ×3, first 2 shown]
	v_add_f32_e32 v14, v26, v52
	v_fmac_f32_e32 v15, 0x3f6c835e, v32
	v_fmac_f32_e32 v6, 0x3f3504f3, v23
	;; [unrolled: 1-line block ×3, first 2 shown]
	v_fma_f32 v19, v26, 2.0, -v14
	v_fma_f32 v20, v49, 2.0, -v15
	;; [unrolled: 1-line block ×4, first 2 shown]
	s_movk_i32 s0, 0xffc4
	ds_write2_b64 v38, v[19:20], v[21:22] offset0:2 offset1:3
	s_load_dwordx2 s[4:5], s[4:5], 0x0
	ds_write2_b64 v38, v[10:11], v[12:13] offset0:4 offset1:5
	ds_write2_b64 v38, v[14:15], v[6:7] offset0:6 offset1:7
	v_mad_i32_i24 v6, v42, s0, v38
	v_lshl_add_u32 v0, v44, 2, 0
	v_add_u32_e32 v21, 0xc00, v6
	v_mul_f32_e32 v61, 0x3f3504f3, v25
	v_mul_f32_e32 v57, 0x3f3504f3, v45
	;; [unrolled: 1-line block ×6, first 2 shown]
	s_waitcnt lgkmcnt(0)
	s_barrier
	v_add_u32_e32 v12, 0x800, v6
	v_add_u32_e32 v13, 0xa00, v6
	;; [unrolled: 1-line block ×4, first 2 shown]
	v_lshl_add_u32 v45, v43, 2, 0
	ds_read_b32 v50, v0
	ds_read_b32 v49, v45
	ds_read_b32 v59, v6 offset:4736
	ds_read2st64_b32 v[10:11], v6 offset1:4
	ds_read2_b32 v[27:28], v12 offset1:80
	ds_read2_b32 v[23:24], v13 offset0:32 offset1:128
	ds_read2_b32 v[25:26], v14 offset1:80
	ds_read2_b32 v[19:20], v15 offset0:80 offset1:160
	ds_read2_b32 v[21:22], v21 offset0:80 offset1:160
	v_mul_i32_i24_e32 v6, 0xffffffc4, v42
	v_mul_f32_e32 v60, 0x3f3504f3, v47
	v_mul_f32_e32 v58, 0x3f3504f3, v46
	v_cmp_gt_u32_e64 s[0:1], 16, v42
	v_add_u32_e32 v46, v38, v6
	v_lshl_add_u32 v47, v39, 2, 0
                                        ; implicit-def: $vgpr13
                                        ; implicit-def: $vgpr15
	s_and_saveexec_b64 s[6:7], s[0:1]
	s_cbranch_execz .LBB0_15
; %bb.14:
	v_add_u32_e32 v6, 0xc0, v46
	ds_read_b32 v7, v47
	ds_read2st64_b32 v[14:15], v6 offset0:7 offset1:11
	ds_read2st64_b32 v[12:13], v6 offset0:15 offset1:19
.LBB0_15:
	s_or_b64 exec, exec, s[6:7]
	v_sub_f32_e32 v6, v8, v16
	v_fma_f32 v8, v8, 2.0, -v6
	v_fma_f32 v16, v18, 2.0, -v35
	v_sub_f32_e32 v16, v8, v16
	v_fma_f32 v8, v8, 2.0, -v16
	v_sub_f32_e32 v5, v6, v5
	v_fma_f32 v17, v17, 2.0, -v29
	v_fma_f32 v6, v6, 2.0, -v5
	v_sub_f32_e32 v18, v8, v17
	v_fma_f32 v17, v8, 2.0, -v18
	v_sub_f32_e32 v8, v6, v61
	v_sub_f32_e32 v60, v8, v60
	v_fma_f32 v6, v6, 2.0, -v60
	v_add_f32_e32 v8, v5, v58
	v_sub_f32_e32 v61, v16, v9
	v_sub_f32_e32 v57, v8, v57
	v_mov_b32_e32 v9, v6
	v_fma_f32 v5, v5, 2.0, -v57
	v_fma_f32 v8, v51, 2.0, -v52
	v_fmac_f32_e32 v9, 0xbf6c835e, v37
	v_fma_f32 v29, v16, 2.0, -v61
	v_sub_f32_e32 v8, v17, v8
	v_fmac_f32_e32 v9, 0xbec3ef15, v36
	v_mov_b32_e32 v36, v5
	v_fma_f32 v16, v17, 2.0, -v8
	v_fma_f32 v17, v6, 2.0, -v9
	v_sub_f32_e32 v6, v29, v56
	v_fmac_f32_e32 v36, 0xbec3ef15, v48
	v_sub_f32_e32 v35, v6, v55
	v_fmac_f32_e32 v36, 0xbf6c835e, v40
	v_mov_b32_e32 v52, v60
	v_mov_b32_e32 v6, v57
	v_fma_f32 v40, v5, 2.0, -v36
	v_fmac_f32_e32 v52, 0x3ec3ef15, v32
	v_add_f32_e32 v5, v61, v54
	v_fmac_f32_e32 v6, 0x3f6c835e, v34
	v_fma_f32 v39, v29, 2.0, -v35
	v_sub_f32_e32 v51, v18, v31
	v_fmac_f32_e32 v52, 0xbf6c835e, v30
	v_sub_f32_e32 v5, v5, v53
	v_fmac_f32_e32 v6, 0xbec3ef15, v33
	v_fma_f32 v29, v18, 2.0, -v51
	v_fma_f32 v30, v60, 2.0, -v52
	;; [unrolled: 1-line block ×4, first 2 shown]
	s_waitcnt lgkmcnt(0)
	s_barrier
	ds_write2_b64 v38, v[16:17], v[39:40] offset1:1
	ds_write2_b64 v38, v[29:30], v[31:32] offset0:2 offset1:3
	ds_write2_b64 v38, v[8:9], v[35:36] offset0:4 offset1:5
	;; [unrolled: 1-line block ×3, first 2 shown]
	v_add_u32_e32 v5, 0x800, v46
	s_waitcnt lgkmcnt(0)
	s_barrier
	ds_read2_b32 v[39:40], v5 offset1:80
	v_add_u32_e32 v5, 0xa00, v46
	ds_read2_b32 v[35:36], v5 offset0:32 offset1:128
	v_add_u32_e32 v5, 0x1000, v46
	ds_read2_b32 v[37:38], v5 offset1:80
	v_add_u32_e32 v5, 0x400, v46
	ds_read2_b32 v[31:32], v5 offset0:80 offset1:160
	v_add_u32_e32 v5, 0xc00, v46
	ds_read2st64_b32 v[8:9], v46 offset1:4
	ds_read2_b32 v[33:34], v5 offset0:80 offset1:160
	ds_read_b32 v48, v0
	ds_read_b32 v5, v45
	ds_read_b32 v60, v46 offset:4736
                                        ; implicit-def: $vgpr17
                                        ; implicit-def: $vgpr30
	s_and_saveexec_b64 s[6:7], s[0:1]
	s_cbranch_execz .LBB0_17
; %bb.16:
	v_add_u32_e32 v16, 0xc0, v46
	ds_read_b32 v6, v47
	ds_read2st64_b32 v[29:30], v16 offset0:7 offset1:11
	ds_read2st64_b32 v[16:17], v16 offset0:15 offset1:19
.LBB0_17:
	s_or_b64 exec, exec, s[6:7]
	v_lshlrev_b32_e32 v18, 5, v42
	v_and_b32_e32 v18, 0x1e0, v18
	global_load_dwordx2 v[61:62], v18, s[12:13]
	global_load_dwordx2 v[63:64], v18, s[12:13] offset:8
	global_load_dwordx2 v[65:66], v18, s[12:13] offset:4
	;; [unrolled: 1-line block ×6, first 2 shown]
	v_and_b32_e32 v75, 15, v42
	v_lshlrev_b32_e32 v51, 5, v75
	global_load_dword v76, v51, s[12:13]
	global_load_dword v77, v18, s[12:13] offset:28
	s_movk_i32 s6, 0x50
	v_lshrrev_b32_e32 v44, 4, v44
	v_mul_lo_u32 v44, v44, s6
	s_waitcnt vmcnt(0) lgkmcnt(0)
	s_barrier
	v_mul_f32_e32 v57, v31, v62
	v_mul_f32_e32 v52, v27, v64
	;; [unrolled: 1-line block ×5, first 2 shown]
	v_fma_f32 v52, v39, v66, -v52
	v_mul_f32_e32 v39, v38, v68
	v_fmac_f32_e32 v53, v27, v66
	v_fmac_f32_e32 v51, v28, v66
	v_mul_f32_e32 v27, v28, v64
	v_mul_f32_e32 v28, v25, v68
	v_fmac_f32_e32 v55, v25, v70
	v_fmac_f32_e32 v39, v26, v70
	v_mul_f32_e32 v25, v26, v68
	v_mul_f32_e32 v26, v35, v64
	v_fma_f32 v27, v40, v66, -v27
	v_mul_f32_e32 v58, v36, v72
	v_fma_f32 v40, v37, v70, -v28
	v_fma_f32 v37, v38, v70, -v25
	v_fmac_f32_e32 v26, v23, v66
	v_mul_f32_e32 v23, v23, v64
	v_mul_f32_e32 v38, v33, v72
	;; [unrolled: 1-line block ×3, first 2 shown]
	v_fmac_f32_e32 v58, v24, v74
	v_fma_f32 v24, v35, v66, -v23
	v_mul_f32_e32 v23, v21, v72
	v_fmac_f32_e32 v38, v21, v74
	v_mul_f32_e32 v21, v22, v72
	v_fma_f32 v56, v36, v74, -v25
	v_mul_f32_e32 v35, v34, v72
	v_fma_f32 v36, v33, v74, -v23
	v_fma_f32 v33, v34, v74, -v21
	v_mul_f32_e32 v25, v19, v62
	v_mul_f32_e32 v34, v32, v62
	v_fmac_f32_e32 v57, v19, v76
	v_mul_f32_e32 v19, v59, v68
	v_mul_f32_e32 v23, v16, v69
	;; [unrolled: 1-line block ×3, first 2 shown]
	v_fmac_f32_e32 v34, v20, v76
	v_mul_f32_e32 v20, v20, v62
	v_mul_f32_e32 v54, v60, v68
	v_fma_f32 v19, v60, v70, -v19
	v_mul_f32_e32 v60, v12, v69
	v_mul_f32_e32 v62, v11, v62
	v_fmac_f32_e32 v23, v12, v71
	v_add_f32_e32 v12, v53, v58
	v_mul_f32_e32 v28, v14, v65
	v_mul_f32_e32 v64, v15, v73
	v_fmac_f32_e32 v54, v59, v70
	v_fma_f32 v59, v31, v76, -v25
	v_mul_f32_e32 v25, v17, v77
	v_fma_f32 v9, v9, v76, -v62
	v_fma_f32 v12, -0.5, v12, v10
	v_fmac_f32_e32 v35, v22, v74
	v_mul_f32_e32 v22, v29, v65
	v_mul_f32_e32 v21, v30, v73
	;; [unrolled: 1-line block ×3, first 2 shown]
	v_fmac_f32_e32 v18, v11, v76
	v_fma_f32 v28, v29, v61, -v28
	v_fma_f32 v29, v30, v63, -v64
	;; [unrolled: 1-line block ×3, first 2 shown]
	v_fmac_f32_e32 v25, v13, v67
	v_sub_f32_e32 v13, v9, v40
	v_mov_b32_e32 v16, v12
	v_fmac_f32_e32 v22, v14, v61
	v_fmac_f32_e32 v21, v15, v63
	v_fma_f32 v31, v17, v67, -v31
	v_sub_f32_e32 v14, v52, v56
	v_sub_f32_e32 v15, v18, v53
	v_fmac_f32_e32 v16, 0xbf737871, v13
	v_sub_f32_e32 v17, v55, v58
	v_fmac_f32_e32 v12, 0x3f737871, v13
	v_fmac_f32_e32 v16, 0xbf167918, v14
	v_add_f32_e32 v15, v15, v17
	v_fmac_f32_e32 v12, 0x3f167918, v14
	v_fmac_f32_e32 v16, 0x3e9e377a, v15
	;; [unrolled: 1-line block ×3, first 2 shown]
	v_add_f32_e32 v15, v18, v55
	v_add_f32_e32 v11, v10, v18
	v_fmac_f32_e32 v10, -0.5, v15
	v_mov_b32_e32 v15, v10
	v_fma_f32 v20, v32, v76, -v20
	v_fmac_f32_e32 v15, 0x3f737871, v14
	v_sub_f32_e32 v17, v53, v18
	v_sub_f32_e32 v32, v58, v55
	v_fmac_f32_e32 v10, 0xbf737871, v14
	v_add_f32_e32 v14, v51, v38
	v_fmac_f32_e32 v15, 0xbf167918, v13
	v_add_f32_e32 v17, v17, v32
	v_fmac_f32_e32 v10, 0x3f167918, v13
	v_fma_f32 v14, -0.5, v14, v50
	v_fmac_f32_e32 v15, 0x3e9e377a, v17
	v_fmac_f32_e32 v10, 0x3e9e377a, v17
	v_sub_f32_e32 v17, v59, v37
	v_mov_b32_e32 v60, v14
	v_fmac_f32_e32 v60, 0xbf737871, v17
	v_sub_f32_e32 v32, v27, v36
	v_sub_f32_e32 v61, v57, v51
	;; [unrolled: 1-line block ×3, first 2 shown]
	v_fmac_f32_e32 v14, 0x3f737871, v17
	v_fmac_f32_e32 v60, 0xbf167918, v32
	v_add_f32_e32 v61, v61, v62
	v_fmac_f32_e32 v14, 0x3f167918, v32
	v_fmac_f32_e32 v60, 0x3e9e377a, v61
	;; [unrolled: 1-line block ×3, first 2 shown]
	v_add_f32_e32 v61, v57, v39
	v_add_f32_e32 v13, v50, v57
	v_fmac_f32_e32 v50, -0.5, v61
	v_mov_b32_e32 v61, v50
	v_fmac_f32_e32 v61, 0x3f737871, v32
	v_sub_f32_e32 v62, v51, v57
	v_sub_f32_e32 v63, v38, v39
	v_fmac_f32_e32 v50, 0xbf737871, v32
	v_fmac_f32_e32 v61, 0xbf167918, v17
	v_add_f32_e32 v62, v62, v63
	v_fmac_f32_e32 v50, 0x3f167918, v17
	v_add_f32_e32 v32, v26, v35
	v_fmac_f32_e32 v61, 0x3e9e377a, v62
	v_fmac_f32_e32 v50, 0x3e9e377a, v62
	v_fma_f32 v62, -0.5, v32, v49
	v_sub_f32_e32 v32, v20, v19
	v_mov_b32_e32 v63, v62
	v_fmac_f32_e32 v63, 0xbf737871, v32
	v_sub_f32_e32 v64, v24, v33
	v_sub_f32_e32 v65, v34, v26
	;; [unrolled: 1-line block ×3, first 2 shown]
	v_fmac_f32_e32 v62, 0x3f737871, v32
	v_fmac_f32_e32 v63, 0xbf167918, v64
	v_add_f32_e32 v65, v65, v66
	v_fmac_f32_e32 v62, 0x3f167918, v64
	v_fmac_f32_e32 v63, 0x3e9e377a, v65
	;; [unrolled: 1-line block ×3, first 2 shown]
	v_add_f32_e32 v65, v34, v54
	v_add_f32_e32 v17, v49, v34
	v_fmac_f32_e32 v49, -0.5, v65
	v_mov_b32_e32 v65, v49
	v_fmac_f32_e32 v65, 0x3f737871, v64
	v_fmac_f32_e32 v49, 0xbf737871, v64
	;; [unrolled: 1-line block ×4, first 2 shown]
	v_lshrrev_b32_e32 v32, 4, v42
	v_add_f32_e32 v11, v11, v53
	v_mul_u32_u24_e32 v32, 0x50, v32
	v_add_f32_e32 v11, v11, v58
	v_or_b32_e32 v32, v32, v75
	v_add_f32_e32 v11, v11, v55
	v_lshl_add_u32 v32, v32, 2, 0
	ds_write2_b32 v32, v11, v16 offset1:16
	ds_write2_b32 v32, v15, v10 offset0:32 offset1:48
	ds_write_b32 v32, v12 offset:256
	v_or_b32_e32 v10, v44, v75
	v_lshl_add_u32 v44, v10, 2, 0
	v_lshrrev_b32_e32 v10, 4, v43
	v_mul_lo_u32 v10, v10, s6
	v_add_f32_e32 v13, v13, v51
	v_add_f32_e32 v13, v13, v38
	;; [unrolled: 1-line block ×5, first 2 shown]
	v_sub_f32_e32 v66, v26, v34
	v_sub_f32_e32 v67, v35, v54
	v_or_b32_e32 v10, v10, v75
	v_add_f32_e32 v17, v17, v54
	v_add_f32_e32 v66, v66, v67
	ds_write2_b32 v44, v13, v60 offset1:16
	ds_write2_b32 v44, v61, v50 offset0:32 offset1:48
	ds_write_b32 v44, v14 offset:256
	v_lshl_add_u32 v50, v10, 2, 0
	v_lshl_add_u32 v43, v42, 2, 0
	v_fmac_f32_e32 v65, 0x3e9e377a, v66
	v_fmac_f32_e32 v49, 0x3e9e377a, v66
	ds_write2_b32 v50, v17, v63 offset1:16
	ds_write2_b32 v50, v65, v49 offset0:32 offset1:48
	ds_write_b32 v50, v62 offset:256
	s_and_saveexec_b64 s[6:7], s[0:1]
	s_cbranch_execz .LBB0_19
; %bb.18:
	v_add_f32_e32 v12, v22, v25
	v_fma_f32 v12, -0.5, v12, v7
	v_sub_f32_e32 v10, v21, v22
	v_sub_f32_e32 v11, v23, v25
	;; [unrolled: 1-line block ×3, first 2 shown]
	v_mov_b32_e32 v14, v12
	v_add_f32_e32 v10, v10, v11
	v_sub_f32_e32 v11, v28, v31
	v_fmac_f32_e32 v14, 0xbf737871, v13
	v_fmac_f32_e32 v12, 0x3f737871, v13
	v_fmac_f32_e32 v14, 0x3f167918, v11
	v_fmac_f32_e32 v12, 0xbf167918, v11
	v_fmac_f32_e32 v14, 0x3e9e377a, v10
	v_fmac_f32_e32 v12, 0x3e9e377a, v10
	v_sub_f32_e32 v10, v22, v21
	v_sub_f32_e32 v15, v25, v23
	v_add_f32_e32 v10, v10, v15
	v_add_f32_e32 v15, v21, v23
	v_fma_f32 v15, -0.5, v15, v7
	v_mov_b32_e32 v16, v15
	v_add_f32_e32 v7, v7, v22
	v_fmac_f32_e32 v16, 0x3f737871, v11
	v_fmac_f32_e32 v15, 0xbf737871, v11
	v_add_f32_e32 v7, v7, v21
	v_fmac_f32_e32 v16, 0x3f167918, v13
	v_fmac_f32_e32 v15, 0xbf167918, v13
	;; [unrolled: 3-line block ×3, first 2 shown]
	v_add_f32_e32 v7, v7, v25
	v_add_u32_e32 v10, 0x1000, v43
	ds_write2_b32 v10, v7, v15 offset0:176 offset1:192
	ds_write2_b32 v10, v12, v14 offset0:208 offset1:224
	ds_write_b32 v43, v16 offset:5056
.LBB0_19:
	s_or_b64 exec, exec, s[6:7]
	v_add_f32_e32 v7, v8, v9
	v_add_f32_e32 v7, v7, v52
	v_add_f32_e32 v7, v7, v56
	v_add_f32_e32 v49, v7, v40
	v_add_f32_e32 v7, v52, v56
	v_fma_f32 v60, -0.5, v7, v8
	v_sub_f32_e32 v7, v18, v55
	v_mov_b32_e32 v55, v60
	v_fmac_f32_e32 v55, 0x3f737871, v7
	v_sub_f32_e32 v10, v53, v58
	v_sub_f32_e32 v11, v9, v52
	;; [unrolled: 1-line block ×3, first 2 shown]
	v_fmac_f32_e32 v60, 0xbf737871, v7
	v_fmac_f32_e32 v55, 0x3f167918, v10
	v_add_f32_e32 v11, v11, v12
	v_fmac_f32_e32 v60, 0xbf167918, v10
	v_fmac_f32_e32 v55, 0x3e9e377a, v11
	;; [unrolled: 1-line block ×3, first 2 shown]
	v_add_f32_e32 v11, v9, v40
	v_fmac_f32_e32 v8, -0.5, v11
	v_mov_b32_e32 v53, v8
	v_fmac_f32_e32 v53, 0xbf737871, v10
	v_fmac_f32_e32 v8, 0x3f737871, v10
	;; [unrolled: 1-line block ×4, first 2 shown]
	v_add_f32_e32 v7, v48, v59
	v_add_f32_e32 v7, v7, v27
	;; [unrolled: 1-line block ×3, first 2 shown]
	v_sub_f32_e32 v11, v56, v40
	v_add_f32_e32 v40, v7, v37
	v_add_f32_e32 v7, v27, v36
	v_sub_f32_e32 v9, v52, v9
	v_fma_f32 v52, -0.5, v7, v48
	v_add_f32_e32 v9, v9, v11
	v_sub_f32_e32 v7, v57, v39
	v_mov_b32_e32 v39, v52
	v_fmac_f32_e32 v53, 0x3e9e377a, v9
	v_fmac_f32_e32 v8, 0x3e9e377a, v9
	;; [unrolled: 1-line block ×3, first 2 shown]
	v_sub_f32_e32 v9, v51, v38
	v_sub_f32_e32 v10, v59, v27
	;; [unrolled: 1-line block ×3, first 2 shown]
	v_fmac_f32_e32 v52, 0xbf737871, v7
	v_fmac_f32_e32 v39, 0x3f167918, v9
	v_add_f32_e32 v10, v10, v11
	v_fmac_f32_e32 v52, 0xbf167918, v9
	v_fmac_f32_e32 v39, 0x3e9e377a, v10
	;; [unrolled: 1-line block ×3, first 2 shown]
	v_add_f32_e32 v10, v59, v37
	v_fmac_f32_e32 v48, -0.5, v10
	v_mov_b32_e32 v38, v48
	v_fmac_f32_e32 v38, 0xbf737871, v9
	v_fmac_f32_e32 v48, 0x3f737871, v9
	;; [unrolled: 1-line block ×4, first 2 shown]
	v_add_f32_e32 v7, v5, v20
	v_add_f32_e32 v7, v7, v24
	;; [unrolled: 1-line block ×3, first 2 shown]
	v_sub_f32_e32 v11, v36, v37
	v_add_f32_e32 v36, v7, v19
	v_add_f32_e32 v7, v24, v33
	v_sub_f32_e32 v10, v27, v59
	v_fma_f32 v37, -0.5, v7, v5
	v_add_f32_e32 v10, v10, v11
	v_sub_f32_e32 v7, v34, v54
	v_mov_b32_e32 v34, v37
	v_fmac_f32_e32 v38, 0x3e9e377a, v10
	v_fmac_f32_e32 v48, 0x3e9e377a, v10
	;; [unrolled: 1-line block ×3, first 2 shown]
	v_sub_f32_e32 v9, v26, v35
	v_sub_f32_e32 v10, v20, v24
	v_sub_f32_e32 v11, v19, v33
	v_fmac_f32_e32 v37, 0xbf737871, v7
	v_fmac_f32_e32 v34, 0x3f167918, v9
	v_add_f32_e32 v10, v10, v11
	v_fmac_f32_e32 v37, 0xbf167918, v9
	v_fmac_f32_e32 v34, 0x3e9e377a, v10
	;; [unrolled: 1-line block ×3, first 2 shown]
	v_add_f32_e32 v10, v20, v19
	v_fmac_f32_e32 v5, -0.5, v10
	v_mov_b32_e32 v35, v5
	v_fmac_f32_e32 v35, 0xbf737871, v9
	v_sub_f32_e32 v10, v24, v20
	v_sub_f32_e32 v11, v33, v19
	v_fmac_f32_e32 v5, 0x3f737871, v9
	v_fmac_f32_e32 v35, 0x3f167918, v7
	v_add_f32_e32 v10, v10, v11
	v_fmac_f32_e32 v5, 0xbf167918, v7
	v_add_u32_e32 v11, 0x400, v46
	v_add_u32_e32 v13, 0xa00, v46
	v_fmac_f32_e32 v35, 0x3e9e377a, v10
	v_fmac_f32_e32 v5, 0x3e9e377a, v10
	s_waitcnt lgkmcnt(0)
	s_barrier
	ds_read2st64_b32 v[9:10], v46 offset1:5
	ds_read_b32 v7, v0
	ds_read_b32 v26, v45
	ds_read2_b32 v[19:20], v11 offset0:144 offset1:224
	v_add_u32_e32 v11, 0x800, v46
	ds_read2_b32 v[15:16], v13 offset0:80 offset1:160
	v_add_u32_e32 v13, 0xc00, v46
	v_add_u32_e32 v17, 0x1000, v46
	ds_read2_b32 v[11:12], v11 offset0:48 offset1:128
	ds_read2_b32 v[13:14], v13 offset0:112 offset1:192
	;; [unrolled: 1-line block ×3, first 2 shown]
	ds_read_b32 v24, v47
	ds_read_b32 v27, v46 offset:4800
	s_waitcnt lgkmcnt(0)
	s_barrier
	ds_write2_b32 v32, v49, v55 offset1:16
	ds_write2_b32 v32, v53, v8 offset0:32 offset1:48
	ds_write_b32 v32, v60 offset:256
	ds_write2_b32 v44, v40, v39 offset1:16
	ds_write2_b32 v44, v38, v48 offset0:32 offset1:48
	ds_write_b32 v44, v52 offset:256
	ds_write2_b32 v50, v36, v34 offset1:16
	ds_write2_b32 v50, v35, v5 offset0:32 offset1:48
	ds_write_b32 v50, v37 offset:256
	s_and_saveexec_b64 s[6:7], s[0:1]
	s_cbranch_execz .LBB0_21
; %bb.20:
	v_add_f32_e32 v8, v29, v30
	v_fma_f32 v8, -0.5, v8, v6
	v_sub_f32_e32 v22, v22, v25
	v_mov_b32_e32 v25, v8
	v_fmac_f32_e32 v25, 0x3f737871, v22
	v_sub_f32_e32 v21, v21, v23
	v_sub_f32_e32 v23, v28, v29
	;; [unrolled: 1-line block ×3, first 2 shown]
	v_fmac_f32_e32 v8, 0xbf737871, v22
	v_fmac_f32_e32 v25, 0x3f167918, v21
	v_add_f32_e32 v23, v23, v32
	v_fmac_f32_e32 v8, 0xbf167918, v21
	v_fmac_f32_e32 v25, 0x3e9e377a, v23
	;; [unrolled: 1-line block ×3, first 2 shown]
	v_add_f32_e32 v23, v28, v31
	v_add_f32_e32 v5, v6, v28
	v_fmac_f32_e32 v6, -0.5, v23
	v_add_f32_e32 v5, v5, v29
	v_mov_b32_e32 v23, v6
	v_add_f32_e32 v5, v5, v30
	v_fmac_f32_e32 v23, 0xbf737871, v21
	v_sub_f32_e32 v28, v29, v28
	v_sub_f32_e32 v29, v30, v31
	v_fmac_f32_e32 v6, 0x3f737871, v21
	v_add_f32_e32 v5, v5, v31
	v_fmac_f32_e32 v23, 0x3f167918, v22
	v_add_f32_e32 v28, v28, v29
	v_fmac_f32_e32 v6, 0xbf167918, v22
	v_add_u32_e32 v21, 0x1000, v43
	v_fmac_f32_e32 v23, 0x3e9e377a, v28
	v_fmac_f32_e32 v6, 0x3e9e377a, v28
	ds_write2_b32 v21, v5, v25 offset0:176 offset1:192
	ds_write2_b32 v21, v23, v6 offset0:208 offset1:224
	ds_write_b32 v43, v8 offset:5056
.LBB0_21:
	s_or_b64 exec, exec, s[6:7]
	s_waitcnt lgkmcnt(0)
	s_barrier
	s_and_saveexec_b64 s[0:1], vcc
	s_cbranch_execz .LBB0_23
; %bb.22:
	v_mul_u32_u24_e32 v5, 15, v42
	v_lshlrev_b32_e32 v8, 3, v5
	global_load_dwordx4 v[28:31], v8, s[12:13] offset:512
	global_load_dwordx4 v[32:35], v8, s[12:13] offset:576
	;; [unrolled: 1-line block ×7, first 2 shown]
	global_load_dwordx2 v[5:6], v8, s[12:13] offset:624
	v_mul_lo_u32 v8, s5, v3
	v_mul_lo_u32 v23, s4, v4
	v_mad_u64_u32 v[3:4], s[0:1], s4, v3, 0
	v_add_u32_e32 v64, 0x1000, v46
	v_add_u32_e32 v65, 0x800, v46
	;; [unrolled: 1-line block ×5, first 2 shown]
	ds_read2st64_b32 v[21:22], v46 offset1:5
	ds_read_b32 v68, v47
	ds_read_b32 v69, v46 offset:4800
	ds_read_b32 v70, v45
	ds_read_b32 v0, v0
	ds_read2_b32 v[42:43], v25 offset0:80 offset1:160
	ds_read2_b32 v[44:45], v40 offset0:144 offset1:224
	;; [unrolled: 1-line block ×5, first 2 shown]
	v_add3_u32 v4, v4, v23, v8
	v_lshlrev_b64 v[3:4], 3, v[3:4]
	s_waitcnt vmcnt(7)
	v_mul_f32_e32 v8, v26, v31
	s_waitcnt vmcnt(6)
	v_mul_f32_e32 v23, v16, v35
	;; [unrolled: 2-line block ×4, first 2 shown]
	s_waitcnt lgkmcnt(6)
	v_mul_f32_e32 v31, v70, v31
	s_waitcnt lgkmcnt(4)
	v_mul_f32_e32 v35, v43, v35
	v_mul_f32_e32 v76, v7, v29
	s_waitcnt vmcnt(0)
	v_mul_f32_e32 v75, v27, v5
	v_mul_f32_e32 v27, v27, v6
	v_fma_f32 v70, v70, v30, -v8
	v_mul_f32_e32 v8, v15, v33
	v_mul_f32_e32 v74, v24, v57
	v_fmac_f32_e32 v75, v69, v6
	v_fma_f32 v5, v69, v5, -v27
	v_mul_f32_e32 v6, v13, v61
	v_mul_f32_e32 v69, v19, v36
	;; [unrolled: 1-line block ×3, first 2 shown]
	v_fma_f32 v23, v43, v34, -v23
	s_waitcnt lgkmcnt(3)
	v_fmac_f32_e32 v25, v45, v39
	s_waitcnt lgkmcnt(2)
	v_fmac_f32_e32 v40, v47, v51
	v_fmac_f32_e32 v35, v16, v34
	v_fma_f32 v34, v0, v28, -v76
	v_fma_f32 v8, v42, v32, -v8
	v_mul_f32_e32 v20, v20, v39
	v_fma_f32 v16, v68, v56, -v74
	s_waitcnt lgkmcnt(0)
	v_fma_f32 v6, v66, v60, -v6
	v_fma_f32 v19, v44, v36, -v19
	v_sub_f32_e32 v36, v25, v40
	v_sub_f32_e32 v40, v34, v8
	v_mul_f32_e32 v8, v11, v53
	v_mul_f32_e32 v27, v11, v52
	v_fma_f32 v20, v45, v38, -v20
	v_sub_f32_e32 v38, v16, v6
	v_mul_f32_e32 v6, v17, v49
	v_fma_f32 v11, v64, v52, -v8
	v_fmac_f32_e32 v31, v26, v30
	v_mul_f32_e32 v26, v17, v48
	v_sub_f32_e32 v17, v11, v5
	v_fma_f32 v5, v46, v48, -v6
	v_sub_f32_e32 v48, v19, v5
	v_mul_f32_e32 v0, v0, v29
	v_mul_f32_e32 v5, v42, v33
	v_fmac_f32_e32 v0, v7, v28
	v_fmac_f32_e32 v5, v15, v32
	v_sub_f32_e32 v15, v0, v5
	v_mul_f32_e32 v5, v10, v59
	v_mul_f32_e32 v72, v10, v58
	v_fma_f32 v10, v22, v58, -v5
	v_mul_f32_e32 v5, v14, v63
	v_fma_f32 v5, v67, v62, -v5
	v_mul_f32_e32 v71, v12, v55
	v_mul_f32_e32 v73, v14, v62
	v_sub_f32_e32 v14, v10, v5
	v_mul_f32_e32 v5, v65, v55
	v_mul_f32_e32 v18, v18, v51
	v_fma_f32 v30, v65, v54, -v71
	v_fmac_f32_e32 v72, v22, v59
	v_fmac_f32_e32 v73, v67, v63
	;; [unrolled: 1-line block ×5, first 2 shown]
	v_fma_f32 v18, v47, v50, -v18
	v_fmac_f32_e32 v27, v64, v53
	v_sub_f32_e32 v30, v21, v30
	v_sub_f32_e32 v37, v72, v73
	;; [unrolled: 1-line block ×3, first 2 shown]
	v_mul_f32_e32 v57, v68, v57
	v_mul_f32_e32 v6, v66, v61
	v_sub_f32_e32 v22, v9, v5
	v_sub_f32_e32 v23, v70, v23
	;; [unrolled: 1-line block ×7, first 2 shown]
	v_fmac_f32_e32 v57, v24, v56
	v_fmac_f32_e32 v6, v13, v60
	v_add_f32_e32 v32, v22, v14
	v_sub_f32_e32 v43, v23, v36
	v_add_f32_e32 v45, v35, v18
	v_sub_f32_e32 v47, v38, v39
	v_mov_b32_e32 v50, v44
	v_mov_b32_e32 v24, v51
	v_sub_f32_e32 v13, v57, v6
	v_add_f32_e32 v28, v15, v48
	v_mov_b32_e32 v33, v32
	v_fma_f32 v21, v21, 2.0, -v30
	v_fma_f32 v10, v10, 2.0, -v14
	;; [unrolled: 1-line block ×4, first 2 shown]
	v_fmac_f32_e32 v50, 0x3f3504f3, v43
	v_fmac_f32_e32 v24, 0x3f3504f3, v47
	v_add_f32_e32 v46, v13, v17
	v_mov_b32_e32 v29, v28
	v_fmac_f32_e32 v33, 0x3f3504f3, v45
	v_sub_f32_e32 v42, v21, v10
	v_fma_f32 v31, v31, 2.0, -v35
	v_fma_f32 v10, v25, 2.0, -v36
	v_sub_f32_e32 v17, v49, v11
	v_fma_f32 v0, v0, 2.0, -v15
	v_fma_f32 v11, v69, 2.0, -v26
	;; [unrolled: 1-line block ×3, first 2 shown]
	v_fmac_f32_e32 v50, 0xbf3504f3, v45
	v_fmac_f32_e32 v24, 0xbf3504f3, v46
	;; [unrolled: 1-line block ×4, first 2 shown]
	v_sub_f32_e32 v25, v31, v10
	v_fma_f32 v34, v34, 2.0, -v40
	v_fma_f32 v10, v19, 2.0, -v48
	;; [unrolled: 1-line block ×3, first 2 shown]
	v_sub_f32_e32 v52, v0, v11
	v_fma_f32 v11, v20, 2.0, -v18
	v_fma_f32 v20, v23, 2.0, -v43
	v_mov_b32_e32 v43, v30
	v_fma_f32 v13, v13, 2.0, -v46
	v_fma_f32 v46, v22, 2.0, -v32
	v_fmac_f32_e32 v29, 0x3f3504f3, v47
	v_sub_f32_e32 v48, v34, v10
	v_fma_f32 v10, v27, 2.0, -v39
	v_fma_f32 v26, v70, 2.0, -v23
	v_fmac_f32_e32 v43, 0xbf3504f3, v20
	v_fma_f32 v23, v35, 2.0, -v45
	v_fma_f32 v16, v38, 2.0, -v47
	v_mov_b32_e32 v47, v46
	v_fma_f32 v56, v21, 2.0, -v42
	v_fma_f32 v21, v44, 2.0, -v50
	v_sub_f32_e32 v27, v19, v10
	v_fma_f32 v54, v9, 2.0, -v22
	v_fma_f32 v9, v72, 2.0, -v37
	v_fmac_f32_e32 v43, 0xbf3504f3, v23
	v_fmac_f32_e32 v47, 0xbf3504f3, v23
	v_fma_f32 v23, v51, 2.0, -v24
	v_mov_b32_e32 v22, v21
	v_mov_b32_e32 v5, v33
	v_sub_f32_e32 v36, v42, v25
	v_sub_f32_e32 v18, v26, v11
	;; [unrolled: 1-line block ×3, first 2 shown]
	v_fma_f32 v58, v0, 2.0, -v52
	v_fma_f32 v0, v19, 2.0, -v27
	;; [unrolled: 1-line block ×3, first 2 shown]
	v_fmac_f32_e32 v22, 0xbec3ef15, v23
	v_fma_f32 v25, v28, 2.0, -v29
	v_mov_b32_e32 v6, v50
	v_fmac_f32_e32 v5, 0x3f6c835e, v29
	v_add_f32_e32 v55, v18, v37
	v_fma_f32 v18, v26, 2.0, -v18
	v_fmac_f32_e32 v22, 0xbf6c835e, v25
	v_fma_f32 v26, v32, 2.0, -v33
	v_fmac_f32_e32 v6, 0x3f6c835e, v24
	v_fmac_f32_e32 v5, 0x3ec3ef15, v24
	v_fma_f32 v24, v21, 2.0, -v22
	v_mov_b32_e32 v21, v26
	v_fmac_f32_e32 v21, 0xbec3ef15, v25
	v_sub_f32_e32 v39, v48, v27
	v_fmac_f32_e32 v21, 0x3f6c835e, v23
	v_fma_f32 v25, v42, 2.0, -v36
	v_add_f32_e32 v53, v17, v52
	v_fma_f32 v23, v26, 2.0, -v21
	v_fma_f32 v27, v48, 2.0, -v39
	v_mov_b32_e32 v26, v25
	v_fmac_f32_e32 v6, 0xbec3ef15, v29
	v_fmac_f32_e32 v26, 0xbf3504f3, v27
	v_fma_f32 v29, v52, 2.0, -v53
	v_fma_f32 v35, v40, 2.0, -v51
	v_fmac_f32_e32 v26, 0xbf3504f3, v29
	v_fma_f32 v31, v37, 2.0, -v55
	v_mov_b32_e32 v38, v35
	v_fma_f32 v40, v15, 2.0, -v28
	v_fma_f32 v28, v25, 2.0, -v26
	v_mov_b32_e32 v25, v31
	v_fmac_f32_e32 v38, 0xbf3504f3, v16
	v_mov_b32_e32 v45, v40
	v_fmac_f32_e32 v25, 0xbf3504f3, v29
	v_fmac_f32_e32 v38, 0xbf3504f3, v13
	;; [unrolled: 1-line block ×4, first 2 shown]
	v_fma_f32 v29, v30, 2.0, -v43
	v_fmac_f32_e32 v45, 0x3f3504f3, v16
	v_fma_f32 v27, v31, 2.0, -v25
	v_fma_f32 v31, v35, 2.0, -v38
	v_mov_b32_e32 v30, v29
	v_fma_f32 v7, v33, 2.0, -v5
	v_mov_b32_e32 v10, v36
	v_fmac_f32_e32 v47, 0x3f3504f3, v20
	v_fmac_f32_e32 v30, 0xbf6c835e, v31
	v_fma_f32 v33, v40, 2.0, -v45
	v_fmac_f32_e32 v10, 0x3f3504f3, v39
	v_fma_f32 v34, v34, 2.0, -v48
	v_fma_f32 v17, v49, 2.0, -v17
	v_fmac_f32_e32 v30, 0xbec3ef15, v33
	v_fma_f32 v35, v46, 2.0, -v47
	v_fmac_f32_e32 v10, 0xbf3504f3, v53
	v_sub_f32_e32 v49, v34, v17
	v_fma_f32 v32, v29, 2.0, -v30
	v_mov_b32_e32 v29, v35
	v_fma_f32 v12, v36, 2.0, -v10
	v_fmac_f32_e32 v29, 0xbf6c835e, v33
	v_fma_f32 v36, v34, 2.0, -v49
	v_mad_u64_u32 v[33:34], s[0:1], s2, v41, 0
	v_sub_f32_e32 v57, v56, v18
	v_sub_f32_e32 v59, v58, v0
	v_fma_f32 v0, v54, 2.0, -v37
	v_fmac_f32_e32 v29, 0x3ec3ef15, v31
	v_mov_b32_e32 v13, v47
	v_sub_f32_e32 v54, v0, v19
	v_fma_f32 v31, v35, 2.0, -v29
	v_fma_f32 v35, v56, 2.0, -v57
	v_mov_b32_e32 v9, v55
	v_mov_b32_e32 v14, v43
	v_fmac_f32_e32 v13, 0x3ec3ef15, v45
	v_sub_f32_e32 v36, v35, v36
	v_fma_f32 v37, v0, 2.0, -v54
	v_mov_b32_e32 v0, v34
	v_fmac_f32_e32 v9, 0x3f3504f3, v53
	v_fmac_f32_e32 v14, 0x3ec3ef15, v38
	;; [unrolled: 1-line block ×3, first 2 shown]
	v_fma_f32 v38, v35, 2.0, -v36
	v_mad_u64_u32 v[34:35], s[0:1], s3, v41, v[0:1]
	v_fma_f32 v0, v58, 2.0, -v59
	v_fmac_f32_e32 v9, 0x3f3504f3, v39
	v_sub_f32_e32 v35, v37, v0
	v_mov_b32_e32 v0, s11
	v_add_co_u32_e32 v39, vcc, s10, v3
	v_add_u32_e32 v40, 0x50, v41
	v_addc_co_u32_e32 v4, vcc, v0, v4, vcc
	v_lshlrev_b64 v[0:1], 3, v[1:2]
	v_mad_u64_u32 v[2:3], s[0:1], s2, v40, 0
	v_add_co_u32_e32 v39, vcc, v39, v0
	v_addc_co_u32_e32 v42, vcc, v4, v1, vcc
	v_lshlrev_b64 v[0:1], 3, v[33:34]
	v_mad_u64_u32 v[3:4], s[0:1], s3, v40, v[3:4]
	v_add_co_u32_e32 v0, vcc, v39, v0
	v_fma_f32 v37, v37, 2.0, -v35
	v_addc_co_u32_e32 v1, vcc, v42, v1, vcc
	v_add_u32_e32 v4, 0xa0, v41
	global_store_dwordx2 v[0:1], v[37:38], off
	v_lshlrev_b64 v[0:1], 3, v[2:3]
	v_mad_u64_u32 v[2:3], s[0:1], s2, v4, 0
	v_add_co_u32_e32 v0, vcc, v39, v0
	v_mad_u64_u32 v[3:4], s[0:1], s3, v4, v[3:4]
	v_add_u32_e32 v4, 0xf0, v41
	v_mad_u64_u32 v[33:34], s[0:1], s2, v4, 0
	v_addc_co_u32_e32 v1, vcc, v42, v1, vcc
	global_store_dwordx2 v[0:1], v[31:32], off
	v_lshlrev_b64 v[0:1], 3, v[2:3]
	v_mov_b32_e32 v2, v34
	v_mad_u64_u32 v[2:3], s[0:1], s3, v4, v[2:3]
	v_add_u32_e32 v4, 0x140, v41
	v_add_co_u32_e32 v0, vcc, v39, v0
	v_mov_b32_e32 v34, v2
	v_mad_u64_u32 v[2:3], s[0:1], s2, v4, 0
	v_addc_co_u32_e32 v1, vcc, v42, v1, vcc
	v_mad_u64_u32 v[3:4], s[0:1], s3, v4, v[3:4]
	v_add_u32_e32 v4, 0x190, v41
	global_store_dwordx2 v[0:1], v[27:28], off
	v_lshlrev_b64 v[0:1], 3, v[33:34]
	v_mad_u64_u32 v[27:28], s[0:1], s2, v4, 0
	v_add_co_u32_e32 v0, vcc, v39, v0
	v_addc_co_u32_e32 v1, vcc, v42, v1, vcc
	global_store_dwordx2 v[0:1], v[23:24], off
	v_lshlrev_b64 v[0:1], 3, v[2:3]
	v_mov_b32_e32 v2, v28
	v_mad_u64_u32 v[2:3], s[0:1], s3, v4, v[2:3]
	v_add_u32_e32 v4, 0x1e0, v41
	v_sub_f32_e32 v18, v57, v59
	v_mov_b32_e32 v28, v2
	v_mad_u64_u32 v[2:3], s[0:1], s2, v4, 0
	v_add_f32_e32 v17, v54, v49
	v_add_co_u32_e32 v0, vcc, v39, v0
	v_mad_u64_u32 v[3:4], s[0:1], s3, v4, v[3:4]
	v_fma_f32 v20, v57, 2.0, -v18
	v_fma_f32 v19, v54, 2.0, -v17
	v_addc_co_u32_e32 v1, vcc, v42, v1, vcc
	v_add_u32_e32 v4, 0x230, v41
	global_store_dwordx2 v[0:1], v[19:20], off
	v_lshlrev_b64 v[0:1], 3, v[27:28]
	v_mad_u64_u32 v[19:20], s[0:1], s2, v4, 0
	v_fmac_f32_e32 v14, 0xbf6c835e, v45
	v_add_co_u32_e32 v0, vcc, v39, v0
	v_fma_f32 v16, v43, 2.0, -v14
	v_fma_f32 v15, v47, 2.0, -v13
	v_addc_co_u32_e32 v1, vcc, v42, v1, vcc
	global_store_dwordx2 v[0:1], v[15:16], off
	v_lshlrev_b64 v[0:1], 3, v[2:3]
	v_mov_b32_e32 v2, v20
	v_mad_u64_u32 v[2:3], s[0:1], s3, v4, v[2:3]
	v_or_b32_e32 v4, 0x280, v41
	v_add_co_u32_e32 v0, vcc, v39, v0
	v_mov_b32_e32 v20, v2
	v_mad_u64_u32 v[2:3], s[0:1], s2, v4, 0
	v_fma_f32 v11, v55, 2.0, -v9
	v_addc_co_u32_e32 v1, vcc, v42, v1, vcc
	v_mad_u64_u32 v[3:4], s[0:1], s3, v4, v[3:4]
	v_add_u32_e32 v4, 0x2d0, v41
	global_store_dwordx2 v[0:1], v[11:12], off
	v_lshlrev_b64 v[0:1], 3, v[19:20]
	v_mad_u64_u32 v[11:12], s[0:1], s2, v4, 0
	v_add_co_u32_e32 v0, vcc, v39, v0
	v_fma_f32 v8, v50, 2.0, -v6
	v_addc_co_u32_e32 v1, vcc, v42, v1, vcc
	global_store_dwordx2 v[0:1], v[7:8], off
	v_lshlrev_b64 v[0:1], 3, v[2:3]
	v_mov_b32_e32 v2, v12
	v_mad_u64_u32 v[2:3], s[0:1], s3, v4, v[2:3]
	v_add_u32_e32 v4, 0x320, v41
	v_add_co_u32_e32 v0, vcc, v39, v0
	v_mov_b32_e32 v12, v2
	v_mad_u64_u32 v[2:3], s[0:1], s2, v4, 0
	v_addc_co_u32_e32 v1, vcc, v42, v1, vcc
	v_mad_u64_u32 v[3:4], s[0:1], s3, v4, v[3:4]
	v_add_u32_e32 v4, 0x370, v41
	global_store_dwordx2 v[0:1], v[35:36], off
	v_lshlrev_b64 v[0:1], 3, v[11:12]
	v_mad_u64_u32 v[7:8], s[0:1], s2, v4, 0
	v_add_co_u32_e32 v0, vcc, v39, v0
	v_addc_co_u32_e32 v1, vcc, v42, v1, vcc
	global_store_dwordx2 v[0:1], v[29:30], off
	v_lshlrev_b64 v[0:1], 3, v[2:3]
	v_mov_b32_e32 v2, v8
	v_mad_u64_u32 v[2:3], s[0:1], s3, v4, v[2:3]
	v_add_u32_e32 v4, 0x3c0, v41
	v_add_co_u32_e32 v0, vcc, v39, v0
	v_mov_b32_e32 v8, v2
	v_mad_u64_u32 v[2:3], s[0:1], s2, v4, 0
	v_addc_co_u32_e32 v1, vcc, v42, v1, vcc
	v_mad_u64_u32 v[3:4], s[0:1], s3, v4, v[3:4]
	v_add_u32_e32 v4, 0x410, v41
	global_store_dwordx2 v[0:1], v[25:26], off
	v_lshlrev_b64 v[0:1], 3, v[7:8]
	v_mad_u64_u32 v[7:8], s[0:1], s2, v4, 0
	v_add_co_u32_e32 v0, vcc, v39, v0
	;; [unrolled: 16-line block ×3, first 2 shown]
	v_addc_co_u32_e32 v1, vcc, v42, v1, vcc
	global_store_dwordx2 v[0:1], v[13:14], off
	v_lshlrev_b64 v[0:1], 3, v[2:3]
	v_mov_b32_e32 v2, v8
	v_mad_u64_u32 v[2:3], s[0:1], s3, v4, v[2:3]
	v_add_co_u32_e32 v0, vcc, v39, v0
	v_addc_co_u32_e32 v1, vcc, v42, v1, vcc
	v_mov_b32_e32 v8, v2
	global_store_dwordx2 v[0:1], v[9:10], off
	v_lshlrev_b64 v[0:1], 3, v[7:8]
	v_add_co_u32_e32 v0, vcc, v39, v0
	v_addc_co_u32_e32 v1, vcc, v42, v1, vcc
	global_store_dwordx2 v[0:1], v[5:6], off
.LBB0_23:
	s_endpgm
	.section	.rodata,"a",@progbits
	.p2align	6, 0x0
	.amdhsa_kernel fft_rtc_back_len1280_factors_16_5_16_wgs_80_tpt_80_halfLds_sp_op_CI_CI_sbrr_dirReg
		.amdhsa_group_segment_fixed_size 0
		.amdhsa_private_segment_fixed_size 0
		.amdhsa_kernarg_size 104
		.amdhsa_user_sgpr_count 6
		.amdhsa_user_sgpr_private_segment_buffer 1
		.amdhsa_user_sgpr_dispatch_ptr 0
		.amdhsa_user_sgpr_queue_ptr 0
		.amdhsa_user_sgpr_kernarg_segment_ptr 1
		.amdhsa_user_sgpr_dispatch_id 0
		.amdhsa_user_sgpr_flat_scratch_init 0
		.amdhsa_user_sgpr_private_segment_size 0
		.amdhsa_uses_dynamic_stack 0
		.amdhsa_system_sgpr_private_segment_wavefront_offset 0
		.amdhsa_system_sgpr_workgroup_id_x 1
		.amdhsa_system_sgpr_workgroup_id_y 0
		.amdhsa_system_sgpr_workgroup_id_z 0
		.amdhsa_system_sgpr_workgroup_info 0
		.amdhsa_system_vgpr_workitem_id 0
		.amdhsa_next_free_vgpr 78
		.amdhsa_next_free_sgpr 32
		.amdhsa_reserve_vcc 1
		.amdhsa_reserve_flat_scratch 0
		.amdhsa_float_round_mode_32 0
		.amdhsa_float_round_mode_16_64 0
		.amdhsa_float_denorm_mode_32 3
		.amdhsa_float_denorm_mode_16_64 3
		.amdhsa_dx10_clamp 1
		.amdhsa_ieee_mode 1
		.amdhsa_fp16_overflow 0
		.amdhsa_exception_fp_ieee_invalid_op 0
		.amdhsa_exception_fp_denorm_src 0
		.amdhsa_exception_fp_ieee_div_zero 0
		.amdhsa_exception_fp_ieee_overflow 0
		.amdhsa_exception_fp_ieee_underflow 0
		.amdhsa_exception_fp_ieee_inexact 0
		.amdhsa_exception_int_div_zero 0
	.end_amdhsa_kernel
	.text
.Lfunc_end0:
	.size	fft_rtc_back_len1280_factors_16_5_16_wgs_80_tpt_80_halfLds_sp_op_CI_CI_sbrr_dirReg, .Lfunc_end0-fft_rtc_back_len1280_factors_16_5_16_wgs_80_tpt_80_halfLds_sp_op_CI_CI_sbrr_dirReg
                                        ; -- End function
	.section	.AMDGPU.csdata,"",@progbits
; Kernel info:
; codeLenInByte = 8788
; NumSgprs: 36
; NumVgprs: 78
; ScratchSize: 0
; MemoryBound: 0
; FloatMode: 240
; IeeeMode: 1
; LDSByteSize: 0 bytes/workgroup (compile time only)
; SGPRBlocks: 4
; VGPRBlocks: 19
; NumSGPRsForWavesPerEU: 36
; NumVGPRsForWavesPerEU: 78
; Occupancy: 3
; WaveLimiterHint : 1
; COMPUTE_PGM_RSRC2:SCRATCH_EN: 0
; COMPUTE_PGM_RSRC2:USER_SGPR: 6
; COMPUTE_PGM_RSRC2:TRAP_HANDLER: 0
; COMPUTE_PGM_RSRC2:TGID_X_EN: 1
; COMPUTE_PGM_RSRC2:TGID_Y_EN: 0
; COMPUTE_PGM_RSRC2:TGID_Z_EN: 0
; COMPUTE_PGM_RSRC2:TIDIG_COMP_CNT: 0
	.type	__hip_cuid_fa1c2b1491e26c73,@object ; @__hip_cuid_fa1c2b1491e26c73
	.section	.bss,"aw",@nobits
	.globl	__hip_cuid_fa1c2b1491e26c73
__hip_cuid_fa1c2b1491e26c73:
	.byte	0                               ; 0x0
	.size	__hip_cuid_fa1c2b1491e26c73, 1

	.ident	"AMD clang version 19.0.0git (https://github.com/RadeonOpenCompute/llvm-project roc-6.4.0 25133 c7fe45cf4b819c5991fe208aaa96edf142730f1d)"
	.section	".note.GNU-stack","",@progbits
	.addrsig
	.addrsig_sym __hip_cuid_fa1c2b1491e26c73
	.amdgpu_metadata
---
amdhsa.kernels:
  - .args:
      - .actual_access:  read_only
        .address_space:  global
        .offset:         0
        .size:           8
        .value_kind:     global_buffer
      - .offset:         8
        .size:           8
        .value_kind:     by_value
      - .actual_access:  read_only
        .address_space:  global
        .offset:         16
        .size:           8
        .value_kind:     global_buffer
      - .actual_access:  read_only
        .address_space:  global
        .offset:         24
        .size:           8
        .value_kind:     global_buffer
      - .actual_access:  read_only
        .address_space:  global
        .offset:         32
        .size:           8
        .value_kind:     global_buffer
      - .offset:         40
        .size:           8
        .value_kind:     by_value
      - .actual_access:  read_only
        .address_space:  global
        .offset:         48
        .size:           8
        .value_kind:     global_buffer
      - .actual_access:  read_only
        .address_space:  global
        .offset:         56
        .size:           8
        .value_kind:     global_buffer
      - .offset:         64
        .size:           4
        .value_kind:     by_value
      - .actual_access:  read_only
        .address_space:  global
        .offset:         72
        .size:           8
        .value_kind:     global_buffer
      - .actual_access:  read_only
        .address_space:  global
        .offset:         80
        .size:           8
        .value_kind:     global_buffer
      - .actual_access:  read_only
        .address_space:  global
        .offset:         88
        .size:           8
        .value_kind:     global_buffer
      - .actual_access:  write_only
        .address_space:  global
        .offset:         96
        .size:           8
        .value_kind:     global_buffer
    .group_segment_fixed_size: 0
    .kernarg_segment_align: 8
    .kernarg_segment_size: 104
    .language:       OpenCL C
    .language_version:
      - 2
      - 0
    .max_flat_workgroup_size: 80
    .name:           fft_rtc_back_len1280_factors_16_5_16_wgs_80_tpt_80_halfLds_sp_op_CI_CI_sbrr_dirReg
    .private_segment_fixed_size: 0
    .sgpr_count:     36
    .sgpr_spill_count: 0
    .symbol:         fft_rtc_back_len1280_factors_16_5_16_wgs_80_tpt_80_halfLds_sp_op_CI_CI_sbrr_dirReg.kd
    .uniform_work_group_size: 1
    .uses_dynamic_stack: false
    .vgpr_count:     78
    .vgpr_spill_count: 0
    .wavefront_size: 64
amdhsa.target:   amdgcn-amd-amdhsa--gfx906
amdhsa.version:
  - 1
  - 2
...

	.end_amdgpu_metadata
